;; amdgpu-corpus repo=ROCm/rocFFT kind=compiled arch=gfx906 opt=O3
	.text
	.amdgcn_target "amdgcn-amd-amdhsa--gfx906"
	.amdhsa_code_object_version 6
	.protected	fft_rtc_back_len50_factors_10_5_wgs_50_tpt_5_sp_op_CI_CI_sbrc_aligned ; -- Begin function fft_rtc_back_len50_factors_10_5_wgs_50_tpt_5_sp_op_CI_CI_sbrc_aligned
	.globl	fft_rtc_back_len50_factors_10_5_wgs_50_tpt_5_sp_op_CI_CI_sbrc_aligned
	.p2align	8
	.type	fft_rtc_back_len50_factors_10_5_wgs_50_tpt_5_sp_op_CI_CI_sbrc_aligned,@function
fft_rtc_back_len50_factors_10_5_wgs_50_tpt_5_sp_op_CI_CI_sbrc_aligned: ; @fft_rtc_back_len50_factors_10_5_wgs_50_tpt_5_sp_op_CI_CI_sbrc_aligned
; %bb.0:
	s_load_dwordx8 s[8:15], s[4:5], 0x0
	s_mov_b32 s34, 0
	s_mov_b32 s30, 3
	s_mov_b64 s[36:37], 2
	s_waitcnt lgkmcnt(0)
	s_load_dword s0, s[12:13], 0x8
	s_load_dwordx4 s[20:23], s[4:5], 0x58
	s_load_dwordx2 s[28:29], s[4:5], 0x20
	s_load_dwordx4 s[24:27], s[14:15], 0x0
	s_mov_b32 s5, s34
	s_waitcnt lgkmcnt(0)
	s_add_i32 s0, s0, -1
	s_mul_hi_u32 s0, s0, 0xcccccccd
	s_lshr_b32 s0, s0, 3
	s_add_i32 s33, s0, 1
	v_cvt_f32_u32_e32 v1, s33
	s_sub_i32 s2, 0, s33
	s_load_dwordx4 s[16:19], s[28:29], 0x0
	v_cmp_gt_u64_e64 s[0:1], s[10:11], 2
	v_rcp_iflag_f32_e32 v1, v1
	v_mul_f32_e32 v1, 0x4f7ffffe, v1
	v_cvt_u32_f32_e32 v1, v1
	v_readfirstlane_b32 s3, v1
	s_mul_i32 s2, s2, s3
	s_mul_hi_u32 s2, s3, s2
	s_add_i32 s3, s3, s2
	s_mul_hi_u32 s2, s6, s3
	s_mul_i32 s3, s2, s33
	s_sub_i32 s3, s6, s3
	s_add_i32 s4, s2, 1
	s_sub_i32 s7, s3, s33
	s_cmp_ge_u32 s3, s33
	s_cselect_b32 s2, s4, s2
	s_cselect_b32 s3, s7, s3
	s_add_i32 s4, s2, 1
	s_cmp_ge_u32 s3, s33
	s_cselect_b32 s7, s4, s2
	s_mul_i32 s2, s7, s33
	s_waitcnt lgkmcnt(0)
	s_sub_i32 s19, s6, s2
	s_mul_i32 s19, s19, 10
	s_mul_i32 s3, s17, s19
	s_mul_hi_u32 s27, s16, s19
	s_mul_i32 s4, s19, s26
	s_mul_i32 s2, s16, s19
	s_add_i32 s3, s27, s3
	s_and_b64 vcc, exec, s[0:1]
	s_cbranch_vccz .LBB0_9
; %bb.1:
	v_mov_b32_e32 v1, s10
	v_mov_b32_e32 v2, s11
.LBB0_2:                                ; =>This Inner Loop Header: Depth=1
	s_lshl_b64 s[36:37], s[36:37], 3
	s_add_u32 s0, s12, s36
	s_addc_u32 s1, s13, s37
	s_load_dwordx2 s[38:39], s[0:1], 0x0
	s_waitcnt lgkmcnt(0)
	s_mov_b32 s35, s39
	s_cmp_lg_u64 s[34:35], 0
	s_cbranch_scc0 .LBB0_7
; %bb.3:                                ;   in Loop: Header=BB0_2 Depth=1
	v_cvt_f32_u32_e32 v3, s38
	v_cvt_f32_u32_e32 v4, s39
	s_sub_u32 s0, 0, s38
	s_subb_u32 s1, 0, s39
	v_mac_f32_e32 v3, 0x4f800000, v4
	v_rcp_f32_e32 v3, v3
	v_mul_f32_e32 v3, 0x5f7ffffc, v3
	v_mul_f32_e32 v4, 0x2f800000, v3
	v_trunc_f32_e32 v4, v4
	v_mac_f32_e32 v3, 0xcf800000, v4
	v_cvt_u32_f32_e32 v4, v4
	v_cvt_u32_f32_e32 v3, v3
	v_readfirstlane_b32 s27, v4
	v_readfirstlane_b32 s31, v3
	s_mul_i32 s35, s0, s27
	s_mul_hi_u32 s41, s0, s31
	s_mul_i32 s40, s1, s31
	s_add_i32 s35, s41, s35
	s_mul_i32 s42, s0, s31
	s_add_i32 s35, s35, s40
	s_mul_hi_u32 s40, s31, s35
	s_mul_i32 s41, s31, s35
	s_mul_hi_u32 s31, s31, s42
	s_add_u32 s31, s31, s41
	s_addc_u32 s40, 0, s40
	s_mul_hi_u32 s43, s27, s42
	s_mul_i32 s42, s27, s42
	s_add_u32 s31, s31, s42
	s_mul_hi_u32 s41, s27, s35
	s_addc_u32 s31, s40, s43
	s_addc_u32 s40, s41, 0
	s_mul_i32 s35, s27, s35
	s_add_u32 s31, s31, s35
	s_addc_u32 s35, 0, s40
	v_add_co_u32_e32 v3, vcc, s31, v3
	s_cmp_lg_u64 vcc, 0
	s_addc_u32 s27, s27, s35
	v_readfirstlane_b32 s35, v3
	s_mul_i32 s31, s0, s27
	s_mul_hi_u32 s40, s0, s35
	s_add_i32 s31, s40, s31
	s_mul_i32 s1, s1, s35
	s_add_i32 s31, s31, s1
	s_mul_i32 s0, s0, s35
	s_mul_hi_u32 s40, s27, s0
	s_mul_i32 s41, s27, s0
	s_mul_i32 s43, s35, s31
	s_mul_hi_u32 s0, s35, s0
	s_mul_hi_u32 s42, s35, s31
	s_add_u32 s0, s0, s43
	s_addc_u32 s35, 0, s42
	s_add_u32 s0, s0, s41
	s_mul_hi_u32 s1, s27, s31
	s_addc_u32 s0, s35, s40
	s_addc_u32 s1, s1, 0
	s_mul_i32 s31, s27, s31
	s_add_u32 s0, s0, s31
	s_addc_u32 s1, 0, s1
	v_add_co_u32_e32 v3, vcc, s0, v3
	s_cmp_lg_u64 vcc, 0
	s_addc_u32 s0, s27, s1
	v_readfirstlane_b32 s27, v3
	s_mul_hi_u32 s1, s7, s0
	s_mul_i32 s0, s7, s0
	s_mul_hi_u32 s27, s7, s27
	s_add_u32 s0, s27, s0
	s_addc_u32 s27, 0, s1
	s_mul_i32 s0, s39, s27
	s_mul_hi_u32 s1, s38, s27
	s_add_i32 s31, s1, s0
	s_mul_i32 s1, s38, s27
	v_mov_b32_e32 v3, s1
	s_sub_i32 s0, 0, s31
	v_sub_co_u32_e32 v3, vcc, s7, v3
	s_cmp_lg_u64 vcc, 0
	s_subb_u32 s35, s0, s39
	v_subrev_co_u32_e64 v4, s[0:1], s38, v3
	s_cmp_lg_u64 s[0:1], 0
	s_subb_u32 s0, s35, 0
	s_cmp_ge_u32 s0, s39
	v_readfirstlane_b32 s35, v4
	s_cselect_b32 s1, -1, 0
	s_cmp_ge_u32 s35, s38
	s_cselect_b32 s35, -1, 0
	s_cmp_eq_u32 s0, s39
	s_cselect_b32 s0, s35, s1
	s_add_u32 s1, s27, 1
	s_addc_u32 s35, 0, 0
	s_add_u32 s40, s27, 2
	s_addc_u32 s41, 0, 0
	s_cmp_lg_u32 s0, 0
	s_cselect_b32 s0, s40, s1
	s_cselect_b32 s1, s41, s35
	s_cmp_lg_u64 vcc, 0
	s_subb_u32 s31, 0, s31
	s_cmp_ge_u32 s31, s39
	v_readfirstlane_b32 s40, v3
	s_cselect_b32 s35, -1, 0
	s_cmp_ge_u32 s40, s38
	s_cselect_b32 s40, -1, 0
	s_cmp_eq_u32 s31, s39
	s_cselect_b32 s31, s40, s35
	s_cmp_lg_u32 s31, 0
	s_cselect_b32 s1, s1, 0
	s_cselect_b32 s0, s0, s27
	s_cbranch_execnz .LBB0_5
.LBB0_4:                                ;   in Loop: Header=BB0_2 Depth=1
	v_cvt_f32_u32_e32 v3, s38
	s_sub_i32 s0, 0, s38
	v_rcp_iflag_f32_e32 v3, v3
	v_mul_f32_e32 v3, 0x4f7ffffe, v3
	v_cvt_u32_f32_e32 v3, v3
	v_readfirstlane_b32 s1, v3
	s_mul_i32 s0, s0, s1
	s_mul_hi_u32 s0, s1, s0
	s_add_i32 s1, s1, s0
	s_mul_hi_u32 s0, s7, s1
	s_mul_i32 s27, s0, s38
	s_sub_i32 s27, s7, s27
	s_add_i32 s1, s0, 1
	s_sub_i32 s31, s27, s38
	s_cmp_ge_u32 s27, s38
	s_cselect_b32 s0, s1, s0
	s_cselect_b32 s27, s31, s27
	s_add_i32 s1, s0, 1
	s_cmp_ge_u32 s27, s38
	s_cselect_b32 s0, s1, s0
	s_mov_b32 s1, s34
.LBB0_5:                                ;   in Loop: Header=BB0_2 Depth=1
	s_mul_i32 s27, s0, s39
	s_mul_hi_u32 s31, s0, s38
	s_add_i32 s27, s31, s27
	s_mul_i32 s1, s1, s38
	s_add_i32 s27, s27, s1
	s_mul_i32 s1, s0, s38
	s_sub_u32 s1, s7, s1
	s_subb_u32 s7, 0, s27
	s_add_u32 s40, s14, s36
	s_addc_u32 s41, s15, s37
	s_load_dwordx2 s[40:41], s[40:41], 0x0
	s_mul_i32 s33, s33, s38
	s_waitcnt lgkmcnt(0)
	s_mul_i32 s27, s40, s7
	s_mul_hi_u32 s31, s40, s1
	s_add_i32 s27, s31, s27
	s_mul_i32 s31, s41, s1
	s_add_i32 s27, s27, s31
	s_mul_i32 s31, s40, s1
	s_add_u32 s4, s31, s4
	s_addc_u32 s5, s27, s5
	s_add_u32 s36, s28, s36
	s_addc_u32 s37, s29, s37
	s_load_dwordx2 s[36:37], s[36:37], 0x0
	s_mov_b32 s31, s34
	v_cmp_ge_u64_e32 vcc, s[30:31], v[1:2]
	s_waitcnt lgkmcnt(0)
	s_mul_i32 s7, s36, s7
	s_mul_hi_u32 s27, s36, s1
	s_add_i32 s7, s27, s7
	s_mul_i32 s27, s37, s1
	s_add_i32 s7, s7, s27
	s_mul_i32 s1, s36, s1
	s_add_u32 s2, s1, s2
	s_addc_u32 s3, s7, s3
	s_mov_b64 s[36:37], s[30:31]
	s_add_i32 s30, s30, 1
	s_cbranch_vccnz .LBB0_8
; %bb.6:                                ;   in Loop: Header=BB0_2 Depth=1
	s_mov_b32 s7, s0
	s_branch .LBB0_2
.LBB0_7:                                ;   in Loop: Header=BB0_2 Depth=1
                                        ; implicit-def: $sgpr0_sgpr1
	s_branch .LBB0_4
.LBB0_8:
	v_cvt_f32_u32_e32 v1, s33
	s_sub_i32 s0, 0, s33
	v_rcp_iflag_f32_e32 v1, v1
	v_mul_f32_e32 v1, 0x4f7ffffe, v1
	v_cvt_u32_f32_e32 v1, v1
	v_readfirstlane_b32 s1, v1
	s_mul_i32 s0, s0, s1
	s_mul_hi_u32 s0, s1, s0
	s_add_i32 s1, s1, s0
	s_mul_hi_u32 s0, s6, s1
	s_mul_i32 s1, s0, s33
	s_sub_i32 s1, s6, s1
	s_add_i32 s7, s0, 1
	s_sub_i32 s6, s1, s33
	s_cmp_ge_u32 s1, s33
	s_cselect_b32 s0, s7, s0
	s_cselect_b32 s1, s6, s1
	s_add_i32 s6, s0, 1
	s_cmp_ge_u32 s1, s33
	s_cselect_b32 s7, s6, s0
.LBB0_9:
	s_lshl_b64 s[0:1], s[10:11], 3
	s_add_u32 s10, s14, s0
	s_addc_u32 s11, s15, s1
	s_load_dwordx2 s[10:11], s[10:11], 0x0
	v_mul_u32_u24_e32 v1, 0x51f, v0
	v_lshrrev_b32_e32 v35, 16, v1
	v_mul_lo_u16_e32 v1, 50, v35
	v_sub_u16_e32 v36, v0, v1
	s_waitcnt lgkmcnt(0)
	s_mul_i32 s6, s11, s7
	s_mul_hi_u32 s11, s10, s7
	s_add_i32 s11, s11, s6
	s_add_u32 s0, s28, s0
	v_mad_u64_u32 v[3:4], s[12:13], s24, v36, 0
	s_addc_u32 s1, s29, s1
	s_load_dwordx2 s[0:1], s[0:1], 0x0
	v_mov_b32_e32 v1, v4
	v_mad_u64_u32 v[1:2], s[12:13], s25, v36, v[1:2]
	s_mul_i32 s10, s10, s7
	s_waitcnt lgkmcnt(0)
	s_mul_i32 s1, s1, s7
	s_mul_hi_u32 s6, s0, s7
	s_add_i32 s1, s6, s1
	s_lshl_b64 s[10:11], s[10:11], 3
	s_add_u32 s6, s20, s10
	v_mov_b32_e32 v4, v1
	v_mul_lo_u32 v1, s26, v35
	s_addc_u32 s10, s21, s11
	s_lshl_b64 s[4:5], s[4:5], 3
	s_add_u32 s4, s6, s4
	v_lshlrev_b64 v[3:4], 3, v[3:4]
	s_addc_u32 s5, s10, s5
	v_mov_b32_e32 v2, 0
	v_mov_b32_e32 v5, s5
	v_add_co_u32_e32 v25, vcc, s4, v3
	v_addc_co_u32_e32 v26, vcc, v5, v4, vcc
	v_lshlrev_b64 v[3:4], 3, v[1:2]
	v_add_u32_e32 v1, s26, v1
	v_add_co_u32_e32 v3, vcc, v25, v3
	v_lshlrev_b64 v[5:6], 3, v[1:2]
	v_addc_co_u32_e32 v4, vcc, v26, v4, vcc
	v_add_u32_e32 v1, s26, v1
	v_add_co_u32_e32 v5, vcc, v25, v5
	v_lshlrev_b64 v[7:8], 3, v[1:2]
	v_addc_co_u32_e32 v6, vcc, v26, v6, vcc
	v_add_u32_e32 v1, s26, v1
	v_lshlrev_b64 v[9:10], 3, v[1:2]
	v_add_co_u32_e32 v7, vcc, v25, v7
	v_add_u32_e32 v1, s26, v1
	v_addc_co_u32_e32 v8, vcc, v26, v8, vcc
	v_lshlrev_b64 v[11:12], 3, v[1:2]
	v_add_co_u32_e32 v9, vcc, v25, v9
	v_add_u32_e32 v1, s26, v1
	v_addc_co_u32_e32 v10, vcc, v26, v10, vcc
	v_lshlrev_b64 v[13:14], 3, v[1:2]
	global_load_dwordx2 v[17:18], v[3:4], off
	global_load_dwordx2 v[19:20], v[5:6], off
	;; [unrolled: 1-line block ×4, first 2 shown]
	v_add_co_u32_e32 v5, vcc, v25, v11
	v_add_u32_e32 v1, s26, v1
	v_addc_co_u32_e32 v6, vcc, v26, v12, vcc
	v_lshlrev_b64 v[15:16], 3, v[1:2]
	v_add_co_u32_e32 v7, vcc, v25, v13
	v_add_u32_e32 v1, s26, v1
	v_addc_co_u32_e32 v8, vcc, v26, v14, vcc
	v_lshlrev_b64 v[3:4], 3, v[1:2]
	v_add_co_u32_e32 v9, vcc, v25, v15
	v_add_u32_e32 v1, s26, v1
	v_addc_co_u32_e32 v10, vcc, v26, v16, vcc
	v_add_co_u32_e32 v3, vcc, v25, v3
	v_lshlrev_b64 v[11:12], 3, v[1:2]
	v_addc_co_u32_e32 v4, vcc, v26, v4, vcc
	v_add_u32_e32 v1, s26, v1
	v_add_co_u32_e32 v11, vcc, v25, v11
	v_lshlrev_b64 v[13:14], 3, v[1:2]
	v_addc_co_u32_e32 v12, vcc, v26, v12, vcc
	v_add_co_u32_e32 v13, vcc, v25, v13
	v_addc_co_u32_e32 v14, vcc, v26, v14, vcc
	global_load_dwordx2 v[15:16], v[5:6], off
	global_load_dwordx2 v[25:26], v[7:8], off
	;; [unrolled: 1-line block ×6, first 2 shown]
	v_mul_u32_u24_e32 v1, 0x3334, v0
	v_add_u32_sdwa v3, s19, v1 dst_sel:DWORD dst_unused:UNUSED_PAD src0_sel:DWORD src1_sel:WORD_1
	s_mov_b32 s4, 0xcccccccd
	v_mul_hi_u32 v4, v3, s4
	v_mul_u32_u24_e32 v5, 0x190, v35
	v_lshlrev_b32_e32 v6, 3, v36
	v_add3_u32 v5, 0, v5, v6
	v_lshrrev_b32_e32 v4, 3, v4
	v_mul_lo_u32 v4, v4, 10
	s_movk_i32 s4, 0x48
	s_mul_i32 s0, s0, s7
	s_lshl_b64 s[0:1], s[0:1], 3
	v_sub_u32_e32 v3, v3, v4
	v_mul_u32_u24_e32 v4, 50, v3
	v_add_u32_e32 v3, 0x800, v5
	s_waitcnt vmcnt(8)
	ds_write2_b64 v5, v[17:18], v[19:20] offset1:50
	s_waitcnt vmcnt(6)
	ds_write2_b64 v5, v[21:22], v[23:24] offset0:100 offset1:150
	v_lshlrev_b32_e32 v22, 3, v4
	s_waitcnt vmcnt(4)
	ds_write2_b64 v5, v[15:16], v[25:26] offset0:200 offset1:250
	s_waitcnt vmcnt(2)
	ds_write2_b64 v3, v[27:28], v[29:30] offset0:44 offset1:94
	;; [unrolled: 2-line block ×3, first 2 shown]
	v_mov_b32_e32 v3, 5
	v_mul_lo_u16_sdwa v1, v1, v3 dst_sel:DWORD dst_unused:UNUSED_PAD src0_sel:WORD_1 src1_sel:DWORD
	v_sub_u16_e32 v3, v0, v1
	v_lshlrev_b32_e32 v23, 3, v3
	v_add3_u32 v1, 0, v23, v22
	s_waitcnt lgkmcnt(0)
	; wave barrier
	s_waitcnt lgkmcnt(0)
	ds_read2_b64 v[4:7], v1 offset0:25 offset1:30
	ds_read2_b64 v[8:11], v1 offset0:35 offset1:40
	;; [unrolled: 1-line block ×4, first 2 shown]
	ds_read_b64 v[20:21], v1 offset:360
	v_add3_u32 v28, 0, v22, v23
	s_waitcnt lgkmcnt(3)
	v_add_f32_e32 v22, v4, v8
	s_waitcnt lgkmcnt(2)
	v_fma_f32 v24, -0.5, v22, v12
	ds_read_b64 v[22:23], v28
	s_waitcnt lgkmcnt(1)
	v_add_f32_e32 v25, v16, v20
	v_add_f32_e32 v26, v5, v9
	;; [unrolled: 1-line block ×3, first 2 shown]
	v_fma_f32 v25, -0.5, v25, v12
	v_fma_f32 v26, -0.5, v26, v13
	;; [unrolled: 1-line block ×3, first 2 shown]
	v_add_f32_e32 v12, v12, v16
	v_add_f32_e32 v13, v13, v17
	s_waitcnt lgkmcnt(0)
	v_add_f32_e32 v29, v22, v14
	v_add_f32_e32 v34, v23, v15
	;; [unrolled: 1-line block ×6, first 2 shown]
	v_sub_f32_e32 v39, v17, v21
	v_sub_f32_e32 v40, v16, v4
	;; [unrolled: 1-line block ×7, first 2 shown]
	v_add_f32_e32 v4, v12, v8
	v_add_f32_e32 v5, v13, v9
	v_sub_f32_e32 v30, v15, v11
	v_sub_f32_e32 v31, v14, v18
	;; [unrolled: 1-line block ×4, first 2 shown]
	v_add_f32_e32 v36, v15, v11
	v_sub_f32_e32 v15, v19, v15
	v_add_f32_e32 v37, v18, v6
	v_sub_f32_e32 v38, v19, v7
	;; [unrolled: 2-line block ×3, first 2 shown]
	v_sub_f32_e32 v16, v16, v20
	v_add_f32_e32 v29, v29, v6
	v_add_f32_e32 v34, v34, v7
	v_sub_f32_e32 v43, v10, v6
	v_sub_f32_e32 v44, v6, v10
	;; [unrolled: 1-line block ×6, first 2 shown]
	v_add_f32_e32 v13, v4, v20
	v_add_f32_e32 v20, v5, v21
	v_mov_b32_e32 v4, v24
	v_mov_b32_e32 v5, v26
	v_sub_f32_e32 v12, v21, v9
	v_fmac_f32_e32 v4, 0xbf737871, v39
	v_fmac_f32_e32 v5, 0x3f737871, v16
	v_fma_f32 v37, -0.5, v37, v22
	v_fma_f32 v19, -0.5, v19, v23
	v_add_f32_e32 v32, v14, v10
	v_sub_f32_e32 v14, v14, v10
	v_sub_f32_e32 v9, v9, v21
	v_add_f32_e32 v21, v31, v43
	v_add_f32_e32 v31, v40, v7
	;; [unrolled: 1-line block ×3, first 2 shown]
	v_fmac_f32_e32 v4, 0xbf167918, v46
	v_fmac_f32_e32 v5, 0x3f167918, v47
	v_mov_b32_e32 v40, v37
	v_mov_b32_e32 v42, v19
	v_fmac_f32_e32 v4, 0x3e9e377a, v31
	v_fmac_f32_e32 v5, 0x3e9e377a, v12
	;; [unrolled: 1-line block ×4, first 2 shown]
	v_add_f32_e32 v10, v29, v10
	v_add_f32_e32 v11, v34, v11
	;; [unrolled: 1-line block ×3, first 2 shown]
	v_mul_f32_e32 v34, 0xbf167918, v5
	v_mul_f32_e32 v35, 0x3f167918, v4
	v_fmac_f32_e32 v40, 0xbf167918, v38
	v_fmac_f32_e32 v42, 0x3f167918, v18
	v_fma_f32 v22, -0.5, v32, v22
	v_fmac_f32_e32 v34, 0x3f4f1bbd, v4
	v_fmac_f32_e32 v35, 0x3f4f1bbd, v5
	;; [unrolled: 1-line block ×4, first 2 shown]
	v_mov_b32_e32 v32, v22
	v_add_f32_e32 v4, v10, v13
	v_add_f32_e32 v5, v11, v20
	;; [unrolled: 1-line block ×4, first 2 shown]
	v_mad_u32_u24 v43, v3, s4, v1
	v_fmac_f32_e32 v32, 0x3f737871, v38
	v_fmac_f32_e32 v22, 0xbf737871, v38
	s_waitcnt lgkmcnt(0)
	; wave barrier
	ds_write2_b64 v43, v[4:5], v[6:7] offset1:1
	v_add_f32_e32 v4, v33, v44
	v_fmac_f32_e32 v32, 0xbf167918, v30
	v_fmac_f32_e32 v22, 0x3f167918, v30
	v_fmac_f32_e32 v23, -0.5, v36
	v_fmac_f32_e32 v32, 0x3e9e377a, v4
	v_fmac_f32_e32 v22, 0x3e9e377a, v4
	v_add_f32_e32 v4, v15, v45
	v_mov_b32_e32 v15, v23
	v_fmac_f32_e32 v15, 0xbf737871, v18
	v_fmac_f32_e32 v23, 0x3f737871, v18
	v_mov_b32_e32 v5, v25
	v_fmac_f32_e32 v15, 0x3f167918, v14
	v_fmac_f32_e32 v23, 0xbf167918, v14
	;; [unrolled: 1-line block ×4, first 2 shown]
	v_mov_b32_e32 v6, v27
	v_fmac_f32_e32 v15, 0x3e9e377a, v4
	v_fmac_f32_e32 v23, 0x3e9e377a, v4
	v_add_f32_e32 v4, v41, v8
	v_fmac_f32_e32 v5, 0xbf167918, v39
	v_fmac_f32_e32 v25, 0x3f167918, v39
	;; [unrolled: 1-line block ×6, first 2 shown]
	v_add_f32_e32 v4, v17, v9
	v_fmac_f32_e32 v6, 0x3f167918, v16
	v_fmac_f32_e32 v27, 0xbf167918, v16
	;; [unrolled: 1-line block ×4, first 2 shown]
	v_mul_f32_e32 v17, 0xbf737871, v6
	v_mul_f32_e32 v33, 0x3e9e377a, v6
	;; [unrolled: 1-line block ×4, first 2 shown]
	v_fmac_f32_e32 v26, 0xbf737871, v16
	v_fmac_f32_e32 v17, 0x3e9e377a, v5
	;; [unrolled: 1-line block ×7, first 2 shown]
	v_add_f32_e32 v4, v32, v17
	v_add_f32_e32 v5, v15, v33
	;; [unrolled: 1-line block ×4, first 2 shown]
	v_fmac_f32_e32 v37, 0x3f737871, v30
	v_fmac_f32_e32 v19, 0xbf737871, v14
	;; [unrolled: 1-line block ×4, first 2 shown]
	ds_write2_b64 v43, v[4:5], v[6:7] offset0:2 offset1:3
	v_sub_f32_e32 v7, v11, v20
	v_sub_f32_e32 v11, v15, v33
	v_fmac_f32_e32 v37, 0x3f167918, v38
	v_fmac_f32_e32 v19, 0xbf167918, v18
	v_fmac_f32_e32 v24, 0x3e9e377a, v31
	v_mul_f32_e32 v14, 0xbf167918, v26
	v_mul_f32_e32 v15, 0xbf4f1bbd, v26
	v_fmac_f32_e32 v37, 0x3e9e377a, v21
	v_fmac_f32_e32 v19, 0x3e9e377a, v29
	;; [unrolled: 1-line block ×4, first 2 shown]
	v_sub_f32_e32 v5, v23, v9
	v_sub_f32_e32 v4, v22, v8
	;; [unrolled: 1-line block ×3, first 2 shown]
	v_add_f32_e32 v12, v37, v14
	v_add_f32_e32 v13, v19, v15
	v_lshlrev_b32_e32 v20, 5, v3
	v_sub_f32_e32 v8, v40, v34
	v_sub_f32_e32 v9, v42, v35
	;; [unrolled: 1-line block ×5, first 2 shown]
	ds_write2_b64 v43, v[12:13], v[6:7] offset0:4 offset1:5
	ds_write2_b64 v43, v[8:9], v[10:11] offset0:6 offset1:7
	;; [unrolled: 1-line block ×3, first 2 shown]
	s_waitcnt lgkmcnt(0)
	; wave barrier
	s_waitcnt lgkmcnt(0)
	global_load_dwordx4 v[4:7], v20, s[8:9] offset:16
	v_add_u32_e32 v21, 0xa0, v20
	global_load_dwordx4 v[8:11], v21, s[8:9] offset:16
	global_load_dwordx4 v[12:15], v20, s[8:9]
	global_load_dwordx4 v[16:19], v21, s[8:9]
	ds_read2_b64 v[20:23], v1 offset0:30 offset1:35
	ds_read2_b64 v[24:27], v1 offset0:40 offset1:45
	s_movk_i32 s4, 0xffb8
	s_waitcnt vmcnt(3) lgkmcnt(1)
	v_mul_f32_e32 v29, v5, v21
	v_mul_f32_e32 v5, v5, v20
	v_fmac_f32_e32 v29, v4, v20
	v_fma_f32 v30, v4, v21, -v5
	s_waitcnt lgkmcnt(0)
	v_mul_f32_e32 v31, v7, v25
	v_mul_f32_e32 v4, v7, v24
	v_fmac_f32_e32 v31, v6, v24
	v_fma_f32 v24, v6, v25, -v4
	s_waitcnt vmcnt(2)
	v_mul_f32_e32 v25, v23, v9
	v_mul_f32_e32 v4, v22, v9
	v_fmac_f32_e32 v25, v22, v8
	v_fma_f32 v22, v23, v8, -v4
	ds_read_b64 v[8:9], v1 offset:80
	v_mul_f32_e32 v23, v27, v11
	v_mul_f32_e32 v4, v26, v11
	v_fmac_f32_e32 v23, v26, v10
	v_fma_f32 v26, v27, v10, -v4
	ds_read2_b64 v[4:7], v1 offset0:20 offset1:25
	ds_read2_b32 v[10:11], v1 offset0:30 offset1:31
	ds_read_b64 v[20:21], v28
	s_waitcnt vmcnt(1) lgkmcnt(3)
	v_mul_f32_e32 v27, v13, v9
	v_fmac_f32_e32 v27, v12, v8
	v_mul_f32_e32 v8, v13, v8
	v_fma_f32 v8, v12, v9, -v8
	s_waitcnt lgkmcnt(2)
	v_mul_f32_e32 v9, v15, v5
	v_fmac_f32_e32 v9, v14, v4
	v_mul_f32_e32 v4, v15, v4
	v_fma_f32 v12, v14, v5, -v4
	s_waitcnt vmcnt(0)
	v_mul_f32_e32 v4, v6, v19
	v_fma_f32 v14, v7, v18, -v4
	s_waitcnt lgkmcnt(1)
	v_mul_f32_e32 v15, v11, v17
	v_mul_f32_e32 v4, v17, v10
	v_fmac_f32_e32 v15, v16, v10
	v_fma_f32 v11, v11, v16, -v4
	v_mad_i32_i24 v16, v3, s4, v43
	s_waitcnt lgkmcnt(0)
	v_add_f32_e32 v3, v20, v27
	v_add_f32_e32 v4, v21, v8
	v_add_f32_e32 v3, v3, v9
	v_add_f32_e32 v4, v4, v12
	v_add_f32_e32 v3, v3, v29
	v_add_f32_e32 v4, v4, v30
	v_mul_f32_e32 v13, v7, v19
	v_add_f32_e32 v3, v3, v31
	v_add_f32_e32 v4, v4, v24
	v_fmac_f32_e32 v13, v6, v18
	ds_read_b64 v[5:6], v16 offset:40
	s_waitcnt lgkmcnt(0)
	; wave barrier
	s_waitcnt lgkmcnt(0)
	ds_write_b64 v16, v[3:4]
	v_sub_f32_e32 v3, v27, v9
	v_sub_f32_e32 v4, v31, v29
	v_add_f32_e32 v17, v3, v4
	v_add_f32_e32 v3, v9, v29
	;; [unrolled: 1-line block ×3, first 2 shown]
	v_fma_f32 v3, -0.5, v3, v20
	v_fma_f32 v20, -0.5, v4, v20
	v_sub_f32_e32 v4, v9, v27
	v_sub_f32_e32 v7, v29, v31
	v_add_f32_e32 v18, v4, v7
	v_sub_f32_e32 v19, v27, v31
	v_sub_f32_e32 v27, v9, v29
	v_sub_f32_e32 v7, v8, v12
	v_sub_f32_e32 v9, v24, v30
	v_add_f32_e32 v4, v12, v30
	v_add_f32_e32 v28, v7, v9
	;; [unrolled: 1-line block ×3, first 2 shown]
	v_fma_f32 v4, -0.5, v4, v21
	v_fmac_f32_e32 v21, -0.5, v7
	v_sub_f32_e32 v29, v8, v24
	v_sub_f32_e32 v7, v12, v8
	;; [unrolled: 1-line block ×4, first 2 shown]
	v_add_f32_e32 v24, v7, v8
	v_mov_b32_e32 v7, v3
	v_mov_b32_e32 v9, v20
	;; [unrolled: 1-line block ×4, first 2 shown]
	v_fmac_f32_e32 v7, 0xbf737871, v29
	v_fmac_f32_e32 v9, 0x3f737871, v12
	;; [unrolled: 1-line block ×12, first 2 shown]
	ds_write2_b64 v1, v[7:8], v[9:10] offset0:10 offset1:20
	v_sub_f32_e32 v7, v15, v13
	v_sub_f32_e32 v8, v23, v25
	v_add_f32_e32 v7, v7, v8
	v_add_f32_e32 v8, v13, v25
	v_fma_f32 v9, -0.5, v8, v5
	v_fmac_f32_e32 v3, 0x3f737871, v29
	v_sub_f32_e32 v8, v11, v26
	v_mov_b32_e32 v10, v9
	v_fmac_f32_e32 v3, 0x3f167918, v12
	v_fmac_f32_e32 v20, 0xbf737871, v12
	;; [unrolled: 1-line block ×3, first 2 shown]
	v_sub_f32_e32 v12, v14, v22
	v_fmac_f32_e32 v9, 0x3f737871, v8
	v_fmac_f32_e32 v10, 0xbf167918, v12
	;; [unrolled: 1-line block ×6, first 2 shown]
	v_sub_f32_e32 v7, v13, v15
	v_sub_f32_e32 v17, v25, v23
	v_add_f32_e32 v7, v7, v17
	v_add_f32_e32 v17, v15, v23
	v_fmac_f32_e32 v20, 0x3f167918, v29
	v_fma_f32 v17, -0.5, v17, v5
	v_fmac_f32_e32 v20, 0x3e9e377a, v18
	v_mov_b32_e32 v18, v17
	v_fmac_f32_e32 v18, 0x3f737871, v12
	v_fmac_f32_e32 v17, 0xbf737871, v12
	;; [unrolled: 1-line block ×4, first 2 shown]
	v_add_f32_e32 v5, v5, v15
	v_fmac_f32_e32 v18, 0x3e9e377a, v7
	v_fmac_f32_e32 v17, 0x3e9e377a, v7
	v_add_f32_e32 v5, v5, v13
	v_add_f32_e32 v7, v6, v11
	;; [unrolled: 1-line block ×6, first 2 shown]
	v_sub_f32_e32 v5, v15, v23
	v_sub_f32_e32 v12, v13, v25
	;; [unrolled: 1-line block ×4, first 2 shown]
	v_add_f32_e32 v13, v13, v15
	v_add_f32_e32 v15, v14, v22
	v_fmac_f32_e32 v21, 0x3f737871, v27
	v_fma_f32 v15, -0.5, v15, v6
	v_fmac_f32_e32 v4, 0xbf737871, v19
	v_fmac_f32_e32 v21, 0xbf167918, v19
	v_mov_b32_e32 v19, v15
	v_fmac_f32_e32 v19, 0x3f737871, v5
	v_fmac_f32_e32 v15, 0xbf737871, v5
	;; [unrolled: 1-line block ×6, first 2 shown]
	v_add_f32_e32 v13, v11, v26
	v_fmac_f32_e32 v4, 0xbf167918, v27
	v_fmac_f32_e32 v6, -0.5, v13
	v_sub_f32_e32 v11, v14, v11
	v_sub_f32_e32 v13, v22, v26
	v_fmac_f32_e32 v4, 0x3e9e377a, v28
	v_fmac_f32_e32 v21, 0x3e9e377a, v24
	v_add_f32_e32 v11, v11, v13
	v_mov_b32_e32 v13, v6
	v_add_f32_e32 v8, v8, v26
	v_fmac_f32_e32 v13, 0xbf737871, v12
	v_fmac_f32_e32 v6, 0x3f737871, v12
	ds_write2_b64 v1, v[20:21], v[3:4] offset0:30 offset1:40
	ds_write_b64 v16, v[7:8] offset:40
	v_mul_u32_u24_e32 v1, 0x199a, v0
	v_fmac_f32_e32 v13, 0x3f167918, v5
	v_fmac_f32_e32 v6, 0xbf167918, v5
	v_lshrrev_b32_e32 v5, 16, v1
	v_mul_lo_u16_e32 v1, 10, v5
	v_sub_u16_e32 v7, v0, v1
	v_mad_u64_u32 v[3:4], s[4:5], s16, v7, 0
	v_fmac_f32_e32 v6, 0x3e9e377a, v11
	v_fmac_f32_e32 v13, 0x3e9e377a, v11
	v_mov_b32_e32 v0, v4
	v_mad_u64_u32 v[0:1], s[4:5], s17, v7, v[0:1]
	s_add_u32 s4, s22, s0
	v_mul_lo_u32 v1, s18, v5
	v_mov_b32_e32 v4, v0
	v_mul_lo_u16_e32 v0, 50, v7
	s_addc_u32 s5, s23, s1
	s_lshl_b64 s[0:1], s[2:3], 3
	v_lshlrev_b32_e32 v0, 3, v0
	v_lshlrev_b32_e32 v7, 3, v5
	s_add_u32 s0, s4, s0
	v_lshlrev_b64 v[3:4], 3, v[3:4]
	v_add3_u32 v5, 0, v0, v7
	s_addc_u32 s1, s5, s1
	ds_write2_b32 v16, v10, v19 offset0:30 offset1:31
	ds_write2_b32 v16, v18, v13 offset0:50 offset1:51
	;; [unrolled: 1-line block ×4, first 2 shown]
	s_waitcnt lgkmcnt(0)
	; wave barrier
	s_waitcnt lgkmcnt(0)
	ds_read_b64 v[5:6], v5
	v_mov_b32_e32 v8, s1
	v_add_co_u32_e32 v11, vcc, s0, v3
	v_addc_co_u32_e32 v12, vcc, v8, v4, vcc
	v_lshlrev_b64 v[3:4], 3, v[1:2]
	v_add3_u32 v0, 0, v7, v0
	ds_read_b64 v[7:8], v0 offset:360
	v_add_co_u32_e32 v3, vcc, v11, v3
	v_addc_co_u32_e32 v4, vcc, v12, v4, vcc
	s_mul_i32 s0, s18, 5
	s_waitcnt lgkmcnt(1)
	global_store_dwordx2 v[3:4], v[5:6], off
	v_add_u32_e32 v1, s0, v1
	ds_read2_b64 v[3:6], v0 offset0:5 offset1:10
	v_lshlrev_b64 v[9:10], 3, v[1:2]
	v_add_u32_e32 v1, s0, v1
	v_add_co_u32_e32 v9, vcc, v11, v9
	v_addc_co_u32_e32 v10, vcc, v12, v10, vcc
	s_waitcnt lgkmcnt(0)
	global_store_dwordx2 v[9:10], v[3:4], off
	v_lshlrev_b64 v[3:4], 3, v[1:2]
	v_add_u32_e32 v1, s0, v1
	v_add_co_u32_e32 v3, vcc, v11, v3
	v_addc_co_u32_e32 v4, vcc, v12, v4, vcc
	global_store_dwordx2 v[3:4], v[5:6], off
	ds_read2_b64 v[3:6], v0 offset0:15 offset1:20
	v_lshlrev_b64 v[9:10], 3, v[1:2]
	v_add_u32_e32 v1, s0, v1
	v_add_co_u32_e32 v9, vcc, v11, v9
	v_addc_co_u32_e32 v10, vcc, v12, v10, vcc
	s_waitcnt lgkmcnt(0)
	global_store_dwordx2 v[9:10], v[3:4], off
	v_lshlrev_b64 v[3:4], 3, v[1:2]
	v_add_u32_e32 v1, s0, v1
	v_add_co_u32_e32 v3, vcc, v11, v3
	v_addc_co_u32_e32 v4, vcc, v12, v4, vcc
	global_store_dwordx2 v[3:4], v[5:6], off
	;; [unrolled: 12-line block ×3, first 2 shown]
	ds_read2_b64 v[3:6], v0 offset0:35 offset1:40
	v_lshlrev_b64 v[9:10], 3, v[1:2]
	v_add_u32_e32 v1, s0, v1
	v_add_co_u32_e32 v9, vcc, v11, v9
	v_addc_co_u32_e32 v10, vcc, v12, v10, vcc
	s_waitcnt lgkmcnt(0)
	global_store_dwordx2 v[9:10], v[3:4], off
	v_lshlrev_b64 v[3:4], 3, v[1:2]
	v_add_u32_e32 v1, s0, v1
	v_add_co_u32_e32 v3, vcc, v11, v3
	v_lshlrev_b64 v[0:1], 3, v[1:2]
	v_addc_co_u32_e32 v4, vcc, v12, v4, vcc
	v_add_co_u32_e32 v0, vcc, v11, v0
	v_addc_co_u32_e32 v1, vcc, v12, v1, vcc
	global_store_dwordx2 v[3:4], v[5:6], off
	global_store_dwordx2 v[0:1], v[7:8], off
	s_endpgm
	.section	.rodata,"a",@progbits
	.p2align	6, 0x0
	.amdhsa_kernel fft_rtc_back_len50_factors_10_5_wgs_50_tpt_5_sp_op_CI_CI_sbrc_aligned
		.amdhsa_group_segment_fixed_size 0
		.amdhsa_private_segment_fixed_size 0
		.amdhsa_kernarg_size 104
		.amdhsa_user_sgpr_count 6
		.amdhsa_user_sgpr_private_segment_buffer 1
		.amdhsa_user_sgpr_dispatch_ptr 0
		.amdhsa_user_sgpr_queue_ptr 0
		.amdhsa_user_sgpr_kernarg_segment_ptr 1
		.amdhsa_user_sgpr_dispatch_id 0
		.amdhsa_user_sgpr_flat_scratch_init 0
		.amdhsa_user_sgpr_private_segment_size 0
		.amdhsa_uses_dynamic_stack 0
		.amdhsa_system_sgpr_private_segment_wavefront_offset 0
		.amdhsa_system_sgpr_workgroup_id_x 1
		.amdhsa_system_sgpr_workgroup_id_y 0
		.amdhsa_system_sgpr_workgroup_id_z 0
		.amdhsa_system_sgpr_workgroup_info 0
		.amdhsa_system_vgpr_workitem_id 0
		.amdhsa_next_free_vgpr 48
		.amdhsa_next_free_sgpr 44
		.amdhsa_reserve_vcc 1
		.amdhsa_reserve_flat_scratch 0
		.amdhsa_float_round_mode_32 0
		.amdhsa_float_round_mode_16_64 0
		.amdhsa_float_denorm_mode_32 3
		.amdhsa_float_denorm_mode_16_64 3
		.amdhsa_dx10_clamp 1
		.amdhsa_ieee_mode 1
		.amdhsa_fp16_overflow 0
		.amdhsa_exception_fp_ieee_invalid_op 0
		.amdhsa_exception_fp_denorm_src 0
		.amdhsa_exception_fp_ieee_div_zero 0
		.amdhsa_exception_fp_ieee_overflow 0
		.amdhsa_exception_fp_ieee_underflow 0
		.amdhsa_exception_fp_ieee_inexact 0
		.amdhsa_exception_int_div_zero 0
	.end_amdhsa_kernel
	.text
.Lfunc_end0:
	.size	fft_rtc_back_len50_factors_10_5_wgs_50_tpt_5_sp_op_CI_CI_sbrc_aligned, .Lfunc_end0-fft_rtc_back_len50_factors_10_5_wgs_50_tpt_5_sp_op_CI_CI_sbrc_aligned
                                        ; -- End function
	.section	.AMDGPU.csdata,"",@progbits
; Kernel info:
; codeLenInByte = 4292
; NumSgprs: 48
; NumVgprs: 48
; ScratchSize: 0
; MemoryBound: 0
; FloatMode: 240
; IeeeMode: 1
; LDSByteSize: 0 bytes/workgroup (compile time only)
; SGPRBlocks: 5
; VGPRBlocks: 11
; NumSGPRsForWavesPerEU: 48
; NumVGPRsForWavesPerEU: 48
; Occupancy: 5
; WaveLimiterHint : 1
; COMPUTE_PGM_RSRC2:SCRATCH_EN: 0
; COMPUTE_PGM_RSRC2:USER_SGPR: 6
; COMPUTE_PGM_RSRC2:TRAP_HANDLER: 0
; COMPUTE_PGM_RSRC2:TGID_X_EN: 1
; COMPUTE_PGM_RSRC2:TGID_Y_EN: 0
; COMPUTE_PGM_RSRC2:TGID_Z_EN: 0
; COMPUTE_PGM_RSRC2:TIDIG_COMP_CNT: 0
	.type	__hip_cuid_c9ec052b1ffd4620,@object ; @__hip_cuid_c9ec052b1ffd4620
	.section	.bss,"aw",@nobits
	.globl	__hip_cuid_c9ec052b1ffd4620
__hip_cuid_c9ec052b1ffd4620:
	.byte	0                               ; 0x0
	.size	__hip_cuid_c9ec052b1ffd4620, 1

	.ident	"AMD clang version 19.0.0git (https://github.com/RadeonOpenCompute/llvm-project roc-6.4.0 25133 c7fe45cf4b819c5991fe208aaa96edf142730f1d)"
	.section	".note.GNU-stack","",@progbits
	.addrsig
	.addrsig_sym __hip_cuid_c9ec052b1ffd4620
	.amdgpu_metadata
---
amdhsa.kernels:
  - .args:
      - .actual_access:  read_only
        .address_space:  global
        .offset:         0
        .size:           8
        .value_kind:     global_buffer
      - .offset:         8
        .size:           8
        .value_kind:     by_value
      - .actual_access:  read_only
        .address_space:  global
        .offset:         16
        .size:           8
        .value_kind:     global_buffer
      - .actual_access:  read_only
        .address_space:  global
        .offset:         24
        .size:           8
        .value_kind:     global_buffer
      - .actual_access:  read_only
        .address_space:  global
        .offset:         32
        .size:           8
        .value_kind:     global_buffer
      - .offset:         40
        .size:           8
        .value_kind:     by_value
      - .actual_access:  read_only
        .address_space:  global
        .offset:         48
        .size:           8
        .value_kind:     global_buffer
      - .actual_access:  read_only
        .address_space:  global
        .offset:         56
        .size:           8
        .value_kind:     global_buffer
      - .offset:         64
        .size:           4
        .value_kind:     by_value
      - .actual_access:  read_only
        .address_space:  global
        .offset:         72
        .size:           8
        .value_kind:     global_buffer
      - .actual_access:  read_only
        .address_space:  global
        .offset:         80
        .size:           8
        .value_kind:     global_buffer
      - .actual_access:  read_only
        .address_space:  global
        .offset:         88
        .size:           8
        .value_kind:     global_buffer
      - .actual_access:  write_only
        .address_space:  global
        .offset:         96
        .size:           8
        .value_kind:     global_buffer
    .group_segment_fixed_size: 0
    .kernarg_segment_align: 8
    .kernarg_segment_size: 104
    .language:       OpenCL C
    .language_version:
      - 2
      - 0
    .max_flat_workgroup_size: 50
    .name:           fft_rtc_back_len50_factors_10_5_wgs_50_tpt_5_sp_op_CI_CI_sbrc_aligned
    .private_segment_fixed_size: 0
    .sgpr_count:     48
    .sgpr_spill_count: 0
    .symbol:         fft_rtc_back_len50_factors_10_5_wgs_50_tpt_5_sp_op_CI_CI_sbrc_aligned.kd
    .uniform_work_group_size: 1
    .uses_dynamic_stack: false
    .vgpr_count:     48
    .vgpr_spill_count: 0
    .wavefront_size: 64
amdhsa.target:   amdgcn-amd-amdhsa--gfx906
amdhsa.version:
  - 1
  - 2
...

	.end_amdgpu_metadata
